;; amdgpu-corpus repo=zjin-lcf/HeCBench kind=compiled arch=gfx1250 opt=O3
	.amdgcn_target "amdgcn-amd-amdhsa--gfx1250"
	.amdhsa_code_object_version 6
	.text
	.protected	_Z12gpu_set_zeroiPdS_   ; -- Begin function _Z12gpu_set_zeroiPdS_
	.globl	_Z12gpu_set_zeroiPdS_
	.p2align	8
	.type	_Z12gpu_set_zeroiPdS_,@function
_Z12gpu_set_zeroiPdS_:                  ; @_Z12gpu_set_zeroiPdS_
; %bb.0:
	s_clause 0x1
	s_load_b32 s2, s[0:1], 0x24
	s_load_b32 s3, s[0:1], 0x0
	s_bfe_u32 s4, ttmp6, 0x4000c
	s_and_b32 s5, ttmp6, 15
	s_add_co_i32 s4, s4, 1
	s_getreg_b32 s6, hwreg(HW_REG_IB_STS2, 6, 4)
	s_mul_i32 s4, ttmp9, s4
	s_delay_alu instid0(SALU_CYCLE_1) | instskip(SKIP_4) | instid1(SALU_CYCLE_1)
	s_add_co_i32 s5, s5, s4
	s_wait_kmcnt 0x0
	s_and_b32 s2, s2, 0xffff
	s_cmp_eq_u32 s6, 0
	s_cselect_b32 s4, ttmp9, s5
	v_mad_u32 v0, s4, s2, v0
	s_mov_b32 s2, exec_lo
	s_delay_alu instid0(VALU_DEP_1)
	v_cmpx_gt_i32_e64 s3, v0
	s_cbranch_execz .LBB0_2
; %bb.1:
	s_load_b128 s[4:7], s[0:1], 0x8
	v_mov_b64_e32 v[2:3], 0
	s_wait_kmcnt 0x0
	s_clause 0x1
	global_store_b64 v0, v[2:3], s[4:5] scale_offset
	global_store_b64 v0, v[2:3], s[6:7] scale_offset
.LBB0_2:
	s_endpgm
	.section	.rodata,"a",@progbits
	.p2align	6, 0x0
	.amdhsa_kernel _Z12gpu_set_zeroiPdS_
		.amdhsa_group_segment_fixed_size 0
		.amdhsa_private_segment_fixed_size 0
		.amdhsa_kernarg_size 280
		.amdhsa_user_sgpr_count 2
		.amdhsa_user_sgpr_dispatch_ptr 0
		.amdhsa_user_sgpr_queue_ptr 0
		.amdhsa_user_sgpr_kernarg_segment_ptr 1
		.amdhsa_user_sgpr_dispatch_id 0
		.amdhsa_user_sgpr_kernarg_preload_length 0
		.amdhsa_user_sgpr_kernarg_preload_offset 0
		.amdhsa_user_sgpr_private_segment_size 0
		.amdhsa_wavefront_size32 1
		.amdhsa_uses_dynamic_stack 0
		.amdhsa_enable_private_segment 0
		.amdhsa_system_sgpr_workgroup_id_x 1
		.amdhsa_system_sgpr_workgroup_id_y 0
		.amdhsa_system_sgpr_workgroup_id_z 0
		.amdhsa_system_sgpr_workgroup_info 0
		.amdhsa_system_vgpr_workitem_id 0
		.amdhsa_next_free_vgpr 4
		.amdhsa_next_free_sgpr 8
		.amdhsa_named_barrier_count 0
		.amdhsa_reserve_vcc 0
		.amdhsa_float_round_mode_32 0
		.amdhsa_float_round_mode_16_64 0
		.amdhsa_float_denorm_mode_32 3
		.amdhsa_float_denorm_mode_16_64 3
		.amdhsa_fp16_overflow 0
		.amdhsa_memory_ordered 1
		.amdhsa_forward_progress 1
		.amdhsa_inst_pref_size 2
		.amdhsa_round_robin_scheduling 0
		.amdhsa_exception_fp_ieee_invalid_op 0
		.amdhsa_exception_fp_denorm_src 0
		.amdhsa_exception_fp_ieee_div_zero 0
		.amdhsa_exception_fp_ieee_overflow 0
		.amdhsa_exception_fp_ieee_underflow 0
		.amdhsa_exception_fp_ieee_inexact 0
		.amdhsa_exception_int_div_zero 0
	.end_amdhsa_kernel
	.text
.Lfunc_end0:
	.size	_Z12gpu_set_zeroiPdS_, .Lfunc_end0-_Z12gpu_set_zeroiPdS_
                                        ; -- End function
	.set _Z12gpu_set_zeroiPdS_.num_vgpr, 4
	.set _Z12gpu_set_zeroiPdS_.num_agpr, 0
	.set _Z12gpu_set_zeroiPdS_.numbered_sgpr, 8
	.set _Z12gpu_set_zeroiPdS_.num_named_barrier, 0
	.set _Z12gpu_set_zeroiPdS_.private_seg_size, 0
	.set _Z12gpu_set_zeroiPdS_.uses_vcc, 0
	.set _Z12gpu_set_zeroiPdS_.uses_flat_scratch, 0
	.set _Z12gpu_set_zeroiPdS_.has_dyn_sized_stack, 0
	.set _Z12gpu_set_zeroiPdS_.has_recursion, 0
	.set _Z12gpu_set_zeroiPdS_.has_indirect_call, 0
	.section	.AMDGPU.csdata,"",@progbits
; Kernel info:
; codeLenInByte = 148
; TotalNumSgprs: 8
; NumVgprs: 4
; ScratchSize: 0
; MemoryBound: 0
; FloatMode: 240
; IeeeMode: 1
; LDSByteSize: 0 bytes/workgroup (compile time only)
; SGPRBlocks: 0
; VGPRBlocks: 0
; NumSGPRsForWavesPerEU: 8
; NumVGPRsForWavesPerEU: 4
; NamedBarCnt: 0
; Occupancy: 16
; WaveLimiterHint : 0
; COMPUTE_PGM_RSRC2:SCRATCH_EN: 0
; COMPUTE_PGM_RSRC2:USER_SGPR: 2
; COMPUTE_PGM_RSRC2:TRAP_HANDLER: 0
; COMPUTE_PGM_RSRC2:TGID_X_EN: 1
; COMPUTE_PGM_RSRC2:TGID_Y_EN: 0
; COMPUTE_PGM_RSRC2:TGID_Z_EN: 0
; COMPUTE_PGM_RSRC2:TIDIG_COMP_CNT: 0
	.text
	.protected	_Z14gpu_copy_stateiPKdS0_PdS1_ ; -- Begin function _Z14gpu_copy_stateiPKdS0_PdS1_
	.globl	_Z14gpu_copy_stateiPKdS0_PdS1_
	.p2align	8
	.type	_Z14gpu_copy_stateiPKdS0_PdS1_,@function
_Z14gpu_copy_stateiPKdS0_PdS1_:         ; @_Z14gpu_copy_stateiPKdS0_PdS1_
; %bb.0:
	s_clause 0x1
	s_load_b32 s2, s[0:1], 0x34
	s_load_b32 s3, s[0:1], 0x0
	s_bfe_u32 s4, ttmp6, 0x4000c
	s_and_b32 s5, ttmp6, 15
	s_add_co_i32 s4, s4, 1
	s_getreg_b32 s6, hwreg(HW_REG_IB_STS2, 6, 4)
	s_mul_i32 s4, ttmp9, s4
	s_delay_alu instid0(SALU_CYCLE_1) | instskip(SKIP_4) | instid1(SALU_CYCLE_1)
	s_add_co_i32 s5, s5, s4
	s_wait_kmcnt 0x0
	s_and_b32 s2, s2, 0xffff
	s_cmp_eq_u32 s6, 0
	s_cselect_b32 s4, ttmp9, s5
	v_mad_u32 v0, s4, s2, v0
	s_mov_b32 s2, exec_lo
	s_delay_alu instid0(VALU_DEP_1)
	v_cmpx_gt_i32_e64 s3, v0
	s_cbranch_execz .LBB1_2
; %bb.1:
	s_load_b256 s[4:11], s[0:1], 0x8
	s_wait_kmcnt 0x0
	s_clause 0x1
	global_load_b64 v[2:3], v0, s[4:5] scale_offset
	global_load_b64 v[4:5], v0, s[6:7] scale_offset
	s_wait_loadcnt 0x1
	global_store_b64 v0, v[2:3], s[8:9] scale_offset
	s_wait_loadcnt 0x0
	global_store_b64 v0, v[4:5], s[10:11] scale_offset
.LBB1_2:
	s_endpgm
	.section	.rodata,"a",@progbits
	.p2align	6, 0x0
	.amdhsa_kernel _Z14gpu_copy_stateiPKdS0_PdS1_
		.amdhsa_group_segment_fixed_size 0
		.amdhsa_private_segment_fixed_size 0
		.amdhsa_kernarg_size 296
		.amdhsa_user_sgpr_count 2
		.amdhsa_user_sgpr_dispatch_ptr 0
		.amdhsa_user_sgpr_queue_ptr 0
		.amdhsa_user_sgpr_kernarg_segment_ptr 1
		.amdhsa_user_sgpr_dispatch_id 0
		.amdhsa_user_sgpr_kernarg_preload_length 0
		.amdhsa_user_sgpr_kernarg_preload_offset 0
		.amdhsa_user_sgpr_private_segment_size 0
		.amdhsa_wavefront_size32 1
		.amdhsa_uses_dynamic_stack 0
		.amdhsa_enable_private_segment 0
		.amdhsa_system_sgpr_workgroup_id_x 1
		.amdhsa_system_sgpr_workgroup_id_y 0
		.amdhsa_system_sgpr_workgroup_id_z 0
		.amdhsa_system_sgpr_workgroup_info 0
		.amdhsa_system_vgpr_workitem_id 0
		.amdhsa_next_free_vgpr 6
		.amdhsa_next_free_sgpr 12
		.amdhsa_named_barrier_count 0
		.amdhsa_reserve_vcc 0
		.amdhsa_float_round_mode_32 0
		.amdhsa_float_round_mode_16_64 0
		.amdhsa_float_denorm_mode_32 3
		.amdhsa_float_denorm_mode_16_64 3
		.amdhsa_fp16_overflow 0
		.amdhsa_memory_ordered 1
		.amdhsa_forward_progress 1
		.amdhsa_inst_pref_size 2
		.amdhsa_round_robin_scheduling 0
		.amdhsa_exception_fp_ieee_invalid_op 0
		.amdhsa_exception_fp_denorm_src 0
		.amdhsa_exception_fp_ieee_div_zero 0
		.amdhsa_exception_fp_ieee_overflow 0
		.amdhsa_exception_fp_ieee_underflow 0
		.amdhsa_exception_fp_ieee_inexact 0
		.amdhsa_exception_int_div_zero 0
	.end_amdhsa_kernel
	.text
.Lfunc_end1:
	.size	_Z14gpu_copy_stateiPKdS0_PdS1_, .Lfunc_end1-_Z14gpu_copy_stateiPKdS0_PdS1_
                                        ; -- End function
	.set _Z14gpu_copy_stateiPKdS0_PdS1_.num_vgpr, 6
	.set _Z14gpu_copy_stateiPKdS0_PdS1_.num_agpr, 0
	.set _Z14gpu_copy_stateiPKdS0_PdS1_.numbered_sgpr, 12
	.set _Z14gpu_copy_stateiPKdS0_PdS1_.num_named_barrier, 0
	.set _Z14gpu_copy_stateiPKdS0_PdS1_.private_seg_size, 0
	.set _Z14gpu_copy_stateiPKdS0_PdS1_.uses_vcc, 0
	.set _Z14gpu_copy_stateiPKdS0_PdS1_.uses_flat_scratch, 0
	.set _Z14gpu_copy_stateiPKdS0_PdS1_.has_dyn_sized_stack, 0
	.set _Z14gpu_copy_stateiPKdS0_PdS1_.has_recursion, 0
	.set _Z14gpu_copy_stateiPKdS0_PdS1_.has_indirect_call, 0
	.section	.AMDGPU.csdata,"",@progbits
; Kernel info:
; codeLenInByte = 176
; TotalNumSgprs: 12
; NumVgprs: 6
; ScratchSize: 0
; MemoryBound: 0
; FloatMode: 240
; IeeeMode: 1
; LDSByteSize: 0 bytes/workgroup (compile time only)
; SGPRBlocks: 0
; VGPRBlocks: 0
; NumSGPRsForWavesPerEU: 12
; NumVGPRsForWavesPerEU: 6
; NamedBarCnt: 0
; Occupancy: 16
; WaveLimiterHint : 0
; COMPUTE_PGM_RSRC2:SCRATCH_EN: 0
; COMPUTE_PGM_RSRC2:USER_SGPR: 2
; COMPUTE_PGM_RSRC2:TRAP_HANDLER: 0
; COMPUTE_PGM_RSRC2:TGID_X_EN: 1
; COMPUTE_PGM_RSRC2:TGID_Y_EN: 0
; COMPUTE_PGM_RSRC2:TGID_Z_EN: 0
; COMPUTE_PGM_RSRC2:TIDIG_COMP_CNT: 0
	.text
	.protected	_Z13gpu_add_stateiPKdS0_PdS1_ ; -- Begin function _Z13gpu_add_stateiPKdS0_PdS1_
	.globl	_Z13gpu_add_stateiPKdS0_PdS1_
	.p2align	8
	.type	_Z13gpu_add_stateiPKdS0_PdS1_,@function
_Z13gpu_add_stateiPKdS0_PdS1_:          ; @_Z13gpu_add_stateiPKdS0_PdS1_
; %bb.0:
	s_clause 0x1
	s_load_b32 s2, s[0:1], 0x34
	s_load_b32 s3, s[0:1], 0x0
	s_bfe_u32 s4, ttmp6, 0x4000c
	s_and_b32 s5, ttmp6, 15
	s_add_co_i32 s4, s4, 1
	s_getreg_b32 s6, hwreg(HW_REG_IB_STS2, 6, 4)
	s_mul_i32 s4, ttmp9, s4
	s_delay_alu instid0(SALU_CYCLE_1) | instskip(SKIP_4) | instid1(SALU_CYCLE_1)
	s_add_co_i32 s5, s5, s4
	s_wait_kmcnt 0x0
	s_and_b32 s2, s2, 0xffff
	s_cmp_eq_u32 s6, 0
	s_cselect_b32 s4, ttmp9, s5
	v_mad_u32 v0, s4, s2, v0
	s_mov_b32 s2, exec_lo
	s_delay_alu instid0(VALU_DEP_1)
	v_cmpx_gt_i32_e64 s3, v0
	s_cbranch_execz .LBB2_2
; %bb.1:
	s_load_b256 s[4:11], s[0:1], 0x8
	s_wait_kmcnt 0x0
	s_clause 0x3
	global_load_b64 v[2:3], v0, s[4:5] scale_offset
	global_load_b64 v[4:5], v0, s[8:9] scale_offset
	;; [unrolled: 1-line block ×4, first 2 shown]
	s_wait_loadcnt 0x2
	v_add_f64_e32 v[2:3], v[2:3], v[4:5]
	s_wait_loadcnt 0x0
	v_add_f64_e32 v[4:5], v[6:7], v[8:9]
	s_clause 0x1
	global_store_b64 v0, v[2:3], s[8:9] scale_offset
	global_store_b64 v0, v[4:5], s[10:11] scale_offset
.LBB2_2:
	s_endpgm
	.section	.rodata,"a",@progbits
	.p2align	6, 0x0
	.amdhsa_kernel _Z13gpu_add_stateiPKdS0_PdS1_
		.amdhsa_group_segment_fixed_size 0
		.amdhsa_private_segment_fixed_size 0
		.amdhsa_kernarg_size 296
		.amdhsa_user_sgpr_count 2
		.amdhsa_user_sgpr_dispatch_ptr 0
		.amdhsa_user_sgpr_queue_ptr 0
		.amdhsa_user_sgpr_kernarg_segment_ptr 1
		.amdhsa_user_sgpr_dispatch_id 0
		.amdhsa_user_sgpr_kernarg_preload_length 0
		.amdhsa_user_sgpr_kernarg_preload_offset 0
		.amdhsa_user_sgpr_private_segment_size 0
		.amdhsa_wavefront_size32 1
		.amdhsa_uses_dynamic_stack 0
		.amdhsa_enable_private_segment 0
		.amdhsa_system_sgpr_workgroup_id_x 1
		.amdhsa_system_sgpr_workgroup_id_y 0
		.amdhsa_system_sgpr_workgroup_id_z 0
		.amdhsa_system_sgpr_workgroup_info 0
		.amdhsa_system_vgpr_workitem_id 0
		.amdhsa_next_free_vgpr 10
		.amdhsa_next_free_sgpr 12
		.amdhsa_named_barrier_count 0
		.amdhsa_reserve_vcc 0
		.amdhsa_float_round_mode_32 0
		.amdhsa_float_round_mode_16_64 0
		.amdhsa_float_denorm_mode_32 3
		.amdhsa_float_denorm_mode_16_64 3
		.amdhsa_fp16_overflow 0
		.amdhsa_memory_ordered 1
		.amdhsa_forward_progress 1
		.amdhsa_inst_pref_size 2
		.amdhsa_round_robin_scheduling 0
		.amdhsa_exception_fp_ieee_invalid_op 0
		.amdhsa_exception_fp_denorm_src 0
		.amdhsa_exception_fp_ieee_div_zero 0
		.amdhsa_exception_fp_ieee_overflow 0
		.amdhsa_exception_fp_ieee_underflow 0
		.amdhsa_exception_fp_ieee_inexact 0
		.amdhsa_exception_int_div_zero 0
	.end_amdhsa_kernel
	.text
.Lfunc_end2:
	.size	_Z13gpu_add_stateiPKdS0_PdS1_, .Lfunc_end2-_Z13gpu_add_stateiPKdS0_PdS1_
                                        ; -- End function
	.set _Z13gpu_add_stateiPKdS0_PdS1_.num_vgpr, 10
	.set _Z13gpu_add_stateiPKdS0_PdS1_.num_agpr, 0
	.set _Z13gpu_add_stateiPKdS0_PdS1_.numbered_sgpr, 12
	.set _Z13gpu_add_stateiPKdS0_PdS1_.num_named_barrier, 0
	.set _Z13gpu_add_stateiPKdS0_PdS1_.private_seg_size, 0
	.set _Z13gpu_add_stateiPKdS0_PdS1_.uses_vcc, 0
	.set _Z13gpu_add_stateiPKdS0_PdS1_.uses_flat_scratch, 0
	.set _Z13gpu_add_stateiPKdS0_PdS1_.has_dyn_sized_stack, 0
	.set _Z13gpu_add_stateiPKdS0_PdS1_.has_recursion, 0
	.set _Z13gpu_add_stateiPKdS0_PdS1_.has_indirect_call, 0
	.section	.AMDGPU.csdata,"",@progbits
; Kernel info:
; codeLenInByte = 212
; TotalNumSgprs: 12
; NumVgprs: 10
; ScratchSize: 0
; MemoryBound: 1
; FloatMode: 240
; IeeeMode: 1
; LDSByteSize: 0 bytes/workgroup (compile time only)
; SGPRBlocks: 0
; VGPRBlocks: 0
; NumSGPRsForWavesPerEU: 12
; NumVGPRsForWavesPerEU: 10
; NamedBarCnt: 0
; Occupancy: 16
; WaveLimiterHint : 0
; COMPUTE_PGM_RSRC2:SCRATCH_EN: 0
; COMPUTE_PGM_RSRC2:USER_SGPR: 2
; COMPUTE_PGM_RSRC2:TRAP_HANDLER: 0
; COMPUTE_PGM_RSRC2:TGID_X_EN: 1
; COMPUTE_PGM_RSRC2:TGID_Y_EN: 0
; COMPUTE_PGM_RSRC2:TGID_Z_EN: 0
; COMPUTE_PGM_RSRC2:TIDIG_COMP_CNT: 0
	.text
	.protected	_Z12gpu_apply_sziPKdS0_PdS1_ ; -- Begin function _Z12gpu_apply_sziPKdS0_PdS1_
	.globl	_Z12gpu_apply_sziPKdS0_PdS1_
	.p2align	8
	.type	_Z12gpu_apply_sziPKdS0_PdS1_,@function
_Z12gpu_apply_sziPKdS0_PdS1_:           ; @_Z12gpu_apply_sziPKdS0_PdS1_
; %bb.0:
	s_clause 0x1
	s_load_b32 s2, s[0:1], 0x34
	s_load_b32 s3, s[0:1], 0x0
	s_bfe_u32 s4, ttmp6, 0x4000c
	s_and_b32 s5, ttmp6, 15
	s_add_co_i32 s4, s4, 1
	s_getreg_b32 s6, hwreg(HW_REG_IB_STS2, 6, 4)
	s_mul_i32 s4, ttmp9, s4
	s_delay_alu instid0(SALU_CYCLE_1) | instskip(SKIP_4) | instid1(SALU_CYCLE_1)
	s_add_co_i32 s5, s5, s4
	s_wait_kmcnt 0x0
	s_and_b32 s2, s2, 0xffff
	s_cmp_eq_u32 s6, 0
	s_cselect_b32 s4, ttmp9, s5
	v_mad_u32 v0, s4, s2, v0
	s_mov_b32 s2, exec_lo
	s_delay_alu instid0(VALU_DEP_1)
	v_cmpx_gt_i32_e64 s3, v0
	s_cbranch_execz .LBB3_6
; %bb.1:
	s_clause 0x1
	s_load_b128 s[4:7], s[0:1], 0x8
	s_load_b64 s[2:3], s[0:1], 0x18
	v_dual_ashrrev_i32 v1, 31, v0 :: v_dual_bitop2_b32 v4, 1, v0 bitop3:0x40
	s_delay_alu instid0(VALU_DEP_1) | instskip(NEXT) | instid1(VALU_DEP_2)
	v_lshlrev_b64_e32 v[6:7], 3, v[0:1]
	v_cmp_eq_u32_e32 vcc_lo, 1, v4
                                        ; implicit-def: $vgpr4_vgpr5
	s_wait_kmcnt 0x0
	global_load_b64 v[2:3], v0, s[4:5] scale_offset
	s_wait_xcnt 0x0
	s_and_saveexec_b32 s4, vcc_lo
	s_delay_alu instid0(SALU_CYCLE_1)
	s_xor_b32 s4, exec_lo, s4
	s_cbranch_execz .LBB3_3
; %bb.2:
	v_add_nc_u64_e32 v[4:5], s[6:7], v[6:7]
	v_add_nc_u64_e32 v[6:7], s[2:3], v[6:7]
	s_wait_loadcnt 0x0
	v_xor_b32_e32 v3, 0x80000000, v3
	global_load_b64 v[4:5], v[4:5], off
	global_store_b64 v[6:7], v[2:3], off
                                        ; implicit-def: $vgpr6_vgpr7
                                        ; implicit-def: $vgpr2_vgpr3
	s_wait_loadcnt 0x0
	s_wait_xcnt 0x1
	v_xor_b32_e32 v5, 0x80000000, v5
.LBB3_3:
	s_wait_xcnt 0x0
	s_or_saveexec_b32 s4, s4
	s_load_b64 s[0:1], s[0:1], 0x20
	s_xor_b32 exec_lo, exec_lo, s4
	s_cbranch_execz .LBB3_5
; %bb.4:
	v_add_nc_u64_e32 v[4:5], s[6:7], v[6:7]
	v_add_nc_u64_e32 v[6:7], s[2:3], v[6:7]
	global_load_b64 v[4:5], v[4:5], off
	s_wait_loadcnt 0x1
	global_store_b64 v[6:7], v[2:3], off
.LBB3_5:
	s_wait_xcnt 0x0
	s_or_b32 exec_lo, exec_lo, s4
	s_wait_kmcnt 0x0
	v_lshl_add_u64 v[0:1], v[0:1], 3, s[0:1]
	s_wait_loadcnt 0x0
	global_store_b64 v[0:1], v[4:5], off
.LBB3_6:
	s_endpgm
	.section	.rodata,"a",@progbits
	.p2align	6, 0x0
	.amdhsa_kernel _Z12gpu_apply_sziPKdS0_PdS1_
		.amdhsa_group_segment_fixed_size 0
		.amdhsa_private_segment_fixed_size 0
		.amdhsa_kernarg_size 296
		.amdhsa_user_sgpr_count 2
		.amdhsa_user_sgpr_dispatch_ptr 0
		.amdhsa_user_sgpr_queue_ptr 0
		.amdhsa_user_sgpr_kernarg_segment_ptr 1
		.amdhsa_user_sgpr_dispatch_id 0
		.amdhsa_user_sgpr_kernarg_preload_length 0
		.amdhsa_user_sgpr_kernarg_preload_offset 0
		.amdhsa_user_sgpr_private_segment_size 0
		.amdhsa_wavefront_size32 1
		.amdhsa_uses_dynamic_stack 0
		.amdhsa_enable_private_segment 0
		.amdhsa_system_sgpr_workgroup_id_x 1
		.amdhsa_system_sgpr_workgroup_id_y 0
		.amdhsa_system_sgpr_workgroup_id_z 0
		.amdhsa_system_sgpr_workgroup_info 0
		.amdhsa_system_vgpr_workitem_id 0
		.amdhsa_next_free_vgpr 8
		.amdhsa_next_free_sgpr 8
		.amdhsa_named_barrier_count 0
		.amdhsa_reserve_vcc 1
		.amdhsa_float_round_mode_32 0
		.amdhsa_float_round_mode_16_64 0
		.amdhsa_float_denorm_mode_32 3
		.amdhsa_float_denorm_mode_16_64 3
		.amdhsa_fp16_overflow 0
		.amdhsa_memory_ordered 1
		.amdhsa_forward_progress 1
		.amdhsa_inst_pref_size 3
		.amdhsa_round_robin_scheduling 0
		.amdhsa_exception_fp_ieee_invalid_op 0
		.amdhsa_exception_fp_denorm_src 0
		.amdhsa_exception_fp_ieee_div_zero 0
		.amdhsa_exception_fp_ieee_overflow 0
		.amdhsa_exception_fp_ieee_underflow 0
		.amdhsa_exception_fp_ieee_inexact 0
		.amdhsa_exception_int_div_zero 0
	.end_amdhsa_kernel
	.text
.Lfunc_end3:
	.size	_Z12gpu_apply_sziPKdS0_PdS1_, .Lfunc_end3-_Z12gpu_apply_sziPKdS0_PdS1_
                                        ; -- End function
	.set _Z12gpu_apply_sziPKdS0_PdS1_.num_vgpr, 8
	.set _Z12gpu_apply_sziPKdS0_PdS1_.num_agpr, 0
	.set _Z12gpu_apply_sziPKdS0_PdS1_.numbered_sgpr, 8
	.set _Z12gpu_apply_sziPKdS0_PdS1_.num_named_barrier, 0
	.set _Z12gpu_apply_sziPKdS0_PdS1_.private_seg_size, 0
	.set _Z12gpu_apply_sziPKdS0_PdS1_.uses_vcc, 1
	.set _Z12gpu_apply_sziPKdS0_PdS1_.uses_flat_scratch, 0
	.set _Z12gpu_apply_sziPKdS0_PdS1_.has_dyn_sized_stack, 0
	.set _Z12gpu_apply_sziPKdS0_PdS1_.has_recursion, 0
	.set _Z12gpu_apply_sziPKdS0_PdS1_.has_indirect_call, 0
	.section	.AMDGPU.csdata,"",@progbits
; Kernel info:
; codeLenInByte = 340
; TotalNumSgprs: 10
; NumVgprs: 8
; ScratchSize: 0
; MemoryBound: 0
; FloatMode: 240
; IeeeMode: 1
; LDSByteSize: 0 bytes/workgroup (compile time only)
; SGPRBlocks: 0
; VGPRBlocks: 0
; NumSGPRsForWavesPerEU: 10
; NumVGPRsForWavesPerEU: 8
; NamedBarCnt: 0
; Occupancy: 16
; WaveLimiterHint : 0
; COMPUTE_PGM_RSRC2:SCRATCH_EN: 0
; COMPUTE_PGM_RSRC2:USER_SGPR: 2
; COMPUTE_PGM_RSRC2:TRAP_HANDLER: 0
; COMPUTE_PGM_RSRC2:TGID_X_EN: 1
; COMPUTE_PGM_RSRC2:TGID_Y_EN: 0
; COMPUTE_PGM_RSRC2:TGID_Z_EN: 0
; COMPUTE_PGM_RSRC2:TIDIG_COMP_CNT: 0
	.text
	.protected	_Z24gpu_find_inner_product_1iPKdS0_S0_S0_PdS1_i ; -- Begin function _Z24gpu_find_inner_product_1iPKdS0_S0_S0_PdS1_i
	.globl	_Z24gpu_find_inner_product_1iPKdS0_S0_S0_PdS1_i
	.p2align	8
	.type	_Z24gpu_find_inner_product_1iPKdS0_S0_S0_PdS1_i,@function
_Z24gpu_find_inner_product_1iPKdS0_S0_S0_PdS1_i: ; @_Z24gpu_find_inner_product_1iPKdS0_S0_S0_PdS1_i
; %bb.0:
	s_clause 0x1
	s_load_b32 s3, s[0:1], 0x4c
	s_load_b32 s4, s[0:1], 0x0
	s_bfe_u32 s2, ttmp6, 0x4000c
	s_and_b32 s5, ttmp6, 15
	s_add_co_i32 s2, s2, 1
	s_getreg_b32 s6, hwreg(HW_REG_IB_STS2, 6, 4)
	s_mul_i32 s2, ttmp9, s2
	v_lshlrev_b32_e32 v2, 3, v0
	s_add_co_i32 s5, s5, s2
	s_cmp_eq_u32 s6, 0
	v_mov_b64_e32 v[6:7], 0
	s_cselect_b32 s2, ttmp9, s5
	v_add_nc_u32_e32 v4, 0x800, v2
	ds_store_2addr_stride64_b64 v2, v[6:7], v[6:7] offset1:4
	s_wait_kmcnt 0x0
	s_and_b32 s3, s3, 0xffff
	s_delay_alu instid0(SALU_CYCLE_1) | instskip(SKIP_1) | instid1(VALU_DEP_1)
	v_mad_u32 v1, s2, s3, v0
	s_mov_b32 s3, exec_lo
	v_cmpx_gt_i32_e64 s4, v1
	s_cbranch_execz .LBB4_2
; %bb.1:
	s_load_b256 s[4:11], s[0:1], 0x8
	s_wait_kmcnt 0x0
	s_clause 0x3
	global_load_b64 v[6:7], v1, s[6:7] scale_offset
	global_load_b64 v[8:9], v1, s[10:11] scale_offset
	;; [unrolled: 1-line block ×4, first 2 shown]
	s_wait_loadcnt 0x2
	v_mul_f64_e32 v[14:15], v[6:7], v[8:9]
	s_wait_loadcnt 0x1
	v_mul_f64_e32 v[8:9], v[10:11], v[8:9]
	s_wait_loadcnt 0x0
	s_delay_alu instid0(VALU_DEP_2) | instskip(NEXT) | instid1(VALU_DEP_2)
	v_fmac_f64_e32 v[14:15], v[10:11], v[12:13]
	v_fma_f64 v[6:7], v[6:7], v[12:13], -v[8:9]
	ds_store_b64 v4, v[14:15]
	ds_store_b64 v2, v[6:7]
.LBB4_2:
	s_or_b32 exec_lo, exec_lo, s3
	s_delay_alu instid0(SALU_CYCLE_1)
	s_mov_b32 s3, exec_lo
	s_wait_dscnt 0x0
	s_barrier_signal -1
	s_barrier_wait -1
	v_cmpx_gt_u32_e32 0x80, v0
	s_cbranch_execz .LBB4_4
; %bb.3:
	ds_load_2addr_stride64_b64 v[6:9], v4 offset1:2
	ds_load_2addr_stride64_b64 v[10:13], v2 offset1:2
	s_wait_dscnt 0x1
	v_add_f64_e32 v[6:7], v[8:9], v[6:7]
	s_wait_dscnt 0x0
	v_add_f64_e32 v[8:9], v[12:13], v[10:11]
	ds_store_b64 v4, v[6:7]
	ds_store_b64 v2, v[8:9]
.LBB4_4:
	s_or_b32 exec_lo, exec_lo, s3
	s_delay_alu instid0(SALU_CYCLE_1)
	s_mov_b32 s3, exec_lo
	s_wait_dscnt 0x0
	s_barrier_signal -1
	s_barrier_wait -1
	v_cmpx_gt_u32_e32 64, v0
	s_cbranch_execz .LBB4_6
; %bb.5:
	ds_load_2addr_stride64_b64 v[6:9], v4 offset1:1
	ds_load_2addr_stride64_b64 v[10:13], v2 offset1:1
	s_wait_dscnt 0x1
	v_add_f64_e32 v[6:7], v[8:9], v[6:7]
	s_wait_dscnt 0x0
	v_add_f64_e32 v[8:9], v[12:13], v[10:11]
	ds_store_b64 v4, v[6:7]
	ds_store_b64 v2, v[8:9]
.LBB4_6:
	s_or_b32 exec_lo, exec_lo, s3
	s_delay_alu instid0(SALU_CYCLE_1)
	s_mov_b32 s3, exec_lo
	s_wait_dscnt 0x0
	s_barrier_signal -1
	s_barrier_wait -1
	v_cmpx_gt_u32_e32 32, v0
	s_cbranch_execz .LBB4_8
; %bb.7:
	s_mov_b64 s[4:5], src_shared_base
	s_delay_alu instid0(SALU_CYCLE_1)
	v_dual_mov_b32 v5, s5 :: v_dual_add_nc_u32 v6, 0x100, v4
	v_mov_b32_e32 v7, s5
	flat_load_b64 v[8:9], v[6:7] scope:SCOPE_SYS
	s_wait_loadcnt 0x0
	flat_load_b64 v[10:11], v[4:5] scope:SCOPE_SYS
	s_wait_loadcnt_dscnt 0x0
	v_dual_add_f64 v[6:7], v[8:9], v[10:11] :: v_dual_mov_b32 v3, s5
	v_dual_mov_b32 v9, s5 :: v_dual_add_nc_u32 v8, 0x80, v4
	flat_store_b64 v[4:5], v[6:7] scope:SCOPE_SYS
	s_wait_storecnt 0x0
	flat_load_b64 v[6:7], v[8:9] scope:SCOPE_SYS
	s_wait_loadcnt 0x0
	flat_load_b64 v[10:11], v[4:5] scope:SCOPE_SYS
	s_wait_loadcnt_dscnt 0x0
	v_dual_add_f64 v[6:7], v[6:7], v[10:11] :: v_dual_add_nc_u32 v8, 64, v4
	flat_store_b64 v[4:5], v[6:7] scope:SCOPE_SYS
	s_wait_storecnt 0x0
	flat_load_b64 v[6:7], v[8:9] scope:SCOPE_SYS
	s_wait_loadcnt 0x0
	flat_load_b64 v[10:11], v[4:5] scope:SCOPE_SYS
	s_wait_loadcnt_dscnt 0x0
	v_dual_add_f64 v[6:7], v[6:7], v[10:11] :: v_dual_add_nc_u32 v8, 32, v4
	;; [unrolled: 7-line block ×4, first 2 shown]
	flat_store_b64 v[4:5], v[6:7] scope:SCOPE_SYS
	s_wait_storecnt 0x0
	flat_load_b64 v[6:7], v[8:9] scope:SCOPE_SYS
	s_wait_loadcnt 0x0
	flat_load_b64 v[10:11], v[4:5] scope:SCOPE_SYS
	s_wait_loadcnt_dscnt 0x0
	v_add_f64_e32 v[6:7], v[6:7], v[10:11]
	flat_store_b64 v[4:5], v[6:7] scope:SCOPE_SYS
	s_wait_storecnt 0x0
	s_wait_xcnt 0x0
	v_add_nc_u32_e32 v4, 0x100, v2
	flat_load_b64 v[6:7], v[4:5] scope:SCOPE_SYS
	s_wait_loadcnt 0x0
	flat_load_b64 v[8:9], v[2:3] scope:SCOPE_SYS
	s_wait_loadcnt 0x0
	s_wait_xcnt 0x1
	v_add_nc_u32_e32 v4, 0x80, v2
	s_wait_dscnt 0x0
	v_add_f64_e32 v[6:7], v[6:7], v[8:9]
	flat_store_b64 v[2:3], v[6:7] scope:SCOPE_SYS
	s_wait_storecnt 0x0
	flat_load_b64 v[6:7], v[4:5] scope:SCOPE_SYS
	s_wait_loadcnt 0x0
	flat_load_b64 v[8:9], v[2:3] scope:SCOPE_SYS
	s_wait_loadcnt_dscnt 0x0
	v_dual_add_f64 v[6:7], v[6:7], v[8:9] :: v_dual_add_nc_u32 v4, 64, v2
	flat_store_b64 v[2:3], v[6:7] scope:SCOPE_SYS
	s_wait_storecnt 0x0
	flat_load_b64 v[6:7], v[4:5] scope:SCOPE_SYS
	s_wait_loadcnt 0x0
	flat_load_b64 v[8:9], v[2:3] scope:SCOPE_SYS
	s_wait_loadcnt_dscnt 0x0
	v_dual_add_f64 v[6:7], v[6:7], v[8:9] :: v_dual_add_nc_u32 v4, 32, v2
	;; [unrolled: 7-line block ×4, first 2 shown]
	flat_store_b64 v[2:3], v[6:7] scope:SCOPE_SYS
	s_wait_storecnt 0x0
	flat_load_b64 v[6:7], v[4:5] scope:SCOPE_SYS
	s_wait_loadcnt 0x0
	flat_load_b64 v[8:9], v[2:3] scope:SCOPE_SYS
	s_wait_loadcnt_dscnt 0x0
	v_add_f64_e32 v[4:5], v[6:7], v[8:9]
	flat_store_b64 v[2:3], v[4:5] scope:SCOPE_SYS
	s_wait_storecnt 0x0
.LBB4_8:
	s_wait_xcnt 0x0
	s_or_b32 exec_lo, exec_lo, s3
	s_delay_alu instid0(SALU_CYCLE_1)
	s_mov_b32 s3, exec_lo
	v_cmpx_eq_u32_e32 0, v0
	s_cbranch_execz .LBB4_10
; %bb.9:
	s_clause 0x1
	s_load_b32 s3, s[0:1], 0x38
	s_load_b128 s[4:7], s[0:1], 0x28
	s_wait_kmcnt 0x0
	s_add_co_i32 s0, s3, s2
	s_delay_alu instid0(SALU_CYCLE_1)
	v_dual_mov_b32 v0, 0 :: v_dual_mov_b32 v4, s0
	ds_load_2addr_stride64_b64 v[0:3], v0 offset1:4
	s_wait_dscnt 0x0
	s_clause 0x1
	global_store_b64 v4, v[2:3], s[4:5] scale_offset
	global_store_b64 v4, v[0:1], s[6:7] scale_offset
.LBB4_10:
	s_endpgm
	.section	.rodata,"a",@progbits
	.p2align	6, 0x0
	.amdhsa_kernel _Z24gpu_find_inner_product_1iPKdS0_S0_S0_PdS1_i
		.amdhsa_group_segment_fixed_size 4096
		.amdhsa_private_segment_fixed_size 0
		.amdhsa_kernarg_size 320
		.amdhsa_user_sgpr_count 2
		.amdhsa_user_sgpr_dispatch_ptr 0
		.amdhsa_user_sgpr_queue_ptr 0
		.amdhsa_user_sgpr_kernarg_segment_ptr 1
		.amdhsa_user_sgpr_dispatch_id 0
		.amdhsa_user_sgpr_kernarg_preload_length 0
		.amdhsa_user_sgpr_kernarg_preload_offset 0
		.amdhsa_user_sgpr_private_segment_size 0
		.amdhsa_wavefront_size32 1
		.amdhsa_uses_dynamic_stack 0
		.amdhsa_enable_private_segment 0
		.amdhsa_system_sgpr_workgroup_id_x 1
		.amdhsa_system_sgpr_workgroup_id_y 0
		.amdhsa_system_sgpr_workgroup_id_z 0
		.amdhsa_system_sgpr_workgroup_info 0
		.amdhsa_system_vgpr_workitem_id 0
		.amdhsa_next_free_vgpr 16
		.amdhsa_next_free_sgpr 12
		.amdhsa_named_barrier_count 0
		.amdhsa_reserve_vcc 0
		.amdhsa_float_round_mode_32 0
		.amdhsa_float_round_mode_16_64 0
		.amdhsa_float_denorm_mode_32 3
		.amdhsa_float_denorm_mode_16_64 3
		.amdhsa_fp16_overflow 0
		.amdhsa_memory_ordered 1
		.amdhsa_forward_progress 1
		.amdhsa_inst_pref_size 11
		.amdhsa_round_robin_scheduling 0
		.amdhsa_exception_fp_ieee_invalid_op 0
		.amdhsa_exception_fp_denorm_src 0
		.amdhsa_exception_fp_ieee_div_zero 0
		.amdhsa_exception_fp_ieee_overflow 0
		.amdhsa_exception_fp_ieee_underflow 0
		.amdhsa_exception_fp_ieee_inexact 0
		.amdhsa_exception_int_div_zero 0
	.end_amdhsa_kernel
	.text
.Lfunc_end4:
	.size	_Z24gpu_find_inner_product_1iPKdS0_S0_S0_PdS1_i, .Lfunc_end4-_Z24gpu_find_inner_product_1iPKdS0_S0_S0_PdS1_i
                                        ; -- End function
	.set _Z24gpu_find_inner_product_1iPKdS0_S0_S0_PdS1_i.num_vgpr, 16
	.set _Z24gpu_find_inner_product_1iPKdS0_S0_S0_PdS1_i.num_agpr, 0
	.set _Z24gpu_find_inner_product_1iPKdS0_S0_S0_PdS1_i.numbered_sgpr, 12
	.set _Z24gpu_find_inner_product_1iPKdS0_S0_S0_PdS1_i.num_named_barrier, 0
	.set _Z24gpu_find_inner_product_1iPKdS0_S0_S0_PdS1_i.private_seg_size, 0
	.set _Z24gpu_find_inner_product_1iPKdS0_S0_S0_PdS1_i.uses_vcc, 0
	.set _Z24gpu_find_inner_product_1iPKdS0_S0_S0_PdS1_i.uses_flat_scratch, 0
	.set _Z24gpu_find_inner_product_1iPKdS0_S0_S0_PdS1_i.has_dyn_sized_stack, 0
	.set _Z24gpu_find_inner_product_1iPKdS0_S0_S0_PdS1_i.has_recursion, 0
	.set _Z24gpu_find_inner_product_1iPKdS0_S0_S0_PdS1_i.has_indirect_call, 0
	.section	.AMDGPU.csdata,"",@progbits
; Kernel info:
; codeLenInByte = 1304
; TotalNumSgprs: 12
; NumVgprs: 16
; ScratchSize: 0
; MemoryBound: 1
; FloatMode: 240
; IeeeMode: 1
; LDSByteSize: 4096 bytes/workgroup (compile time only)
; SGPRBlocks: 0
; VGPRBlocks: 0
; NumSGPRsForWavesPerEU: 12
; NumVGPRsForWavesPerEU: 16
; NamedBarCnt: 0
; Occupancy: 16
; WaveLimiterHint : 1
; COMPUTE_PGM_RSRC2:SCRATCH_EN: 0
; COMPUTE_PGM_RSRC2:USER_SGPR: 2
; COMPUTE_PGM_RSRC2:TRAP_HANDLER: 0
; COMPUTE_PGM_RSRC2:TGID_X_EN: 1
; COMPUTE_PGM_RSRC2:TGID_Y_EN: 0
; COMPUTE_PGM_RSRC2:TGID_Z_EN: 0
; COMPUTE_PGM_RSRC2:TIDIG_COMP_CNT: 0
	.text
	.protected	_Z24gpu_find_inner_product_2iPKdS0_PdS1_ ; -- Begin function _Z24gpu_find_inner_product_2iPKdS0_PdS1_
	.globl	_Z24gpu_find_inner_product_2iPKdS0_PdS1_
	.p2align	8
	.type	_Z24gpu_find_inner_product_2iPKdS0_PdS1_,@function
_Z24gpu_find_inner_product_2iPKdS0_PdS1_: ; @_Z24gpu_find_inner_product_2iPKdS0_PdS1_
; %bb.0:
	s_load_b32 s3, s[0:1], 0x0
	v_lshlrev_b32_e32 v2, 3, v0
	v_mov_b64_e32 v[6:7], 0
	s_getreg_b32 s2, hwreg(HW_REG_IB_STS2, 6, 4)
	s_delay_alu instid0(VALU_DEP_2)
	v_add_nc_u32_e32 v4, 0x800, v2
	ds_store_2addr_stride64_b64 v2, v[6:7], v[6:7] offset1:4
	s_wait_kmcnt 0x0
	s_cmp_lt_i32 s3, 0xffff0002
	s_cbranch_scc1 .LBB5_5
; %bb.1:
	s_load_b128 s[4:7], s[0:1], 0x8
	s_add_co_i32 s3, s3, -1
	s_bfe_u32 s9, ttmp6, 0x4000c
	s_ashr_i32 s8, s3, 31
	s_add_co_i32 s9, s9, 1
	s_lshr_b32 s10, s8, 24
	s_lshr_b32 s8, s8, 16
	s_add_co_i32 s10, s3, s10
	s_add_co_i32 s8, s3, s8
	s_ashr_i32 s3, s10, 8
	s_ashr_i32 s10, s8, 16
	s_and_b32 s8, ttmp6, 15
	s_mul_i32 s9, ttmp9, s9
	s_add_co_i32 s11, s3, 1
	s_add_co_i32 s8, s8, s9
	v_mov_b64_e32 v[8:9], 0
	s_cmp_eq_u32 s2, 0
	v_mov_b32_e32 v1, v0
	s_cselect_b32 s8, ttmp9, s8
	s_add_co_i32 s9, s10, 1
	s_mul_i32 s8, s11, s8
	s_branch .LBB5_3
.LBB5_2:                                ;   in Loop: Header=BB5_3 Depth=1
	s_or_b32 exec_lo, exec_lo, s10
	v_add_nc_u32_e32 v1, 0x100, v1
	s_add_co_i32 s9, s9, -1
	s_delay_alu instid0(SALU_CYCLE_1)
	s_cmp_lg_u32 s9, 0
	s_cbranch_scc0 .LBB5_5
.LBB5_3:                                ; =>This Inner Loop Header: Depth=1
	s_mov_b32 s10, exec_lo
	v_cmpx_ge_i32_e64 s3, v1
	s_cbranch_execz .LBB5_2
; %bb.4:                                ;   in Loop: Header=BB5_3 Depth=1
	v_add_nc_u32_e32 v3, s8, v1
	s_wait_kmcnt 0x0
	s_clause 0x1
	global_load_b64 v[10:11], v3, s[4:5] scale_offset
	global_load_b64 v[12:13], v3, s[6:7] scale_offset
	s_wait_loadcnt 0x1
	v_add_f64_e32 v[8:9], v[10:11], v[8:9]
	s_wait_loadcnt 0x0
	v_add_f64_e32 v[6:7], v[12:13], v[6:7]
	ds_store_b64 v4, v[8:9]
	ds_store_b64 v2, v[6:7]
	s_branch .LBB5_2
.LBB5_5:
	s_mov_b32 s3, exec_lo
	s_wait_dscnt 0x0
	s_barrier_signal -1
	s_barrier_wait -1
	v_cmpx_gt_u32_e32 0x80, v0
	s_cbranch_execz .LBB5_7
; %bb.6:
	ds_load_2addr_stride64_b64 v[6:9], v4 offset1:2
	ds_load_2addr_stride64_b64 v[10:13], v2 offset1:2
	s_wait_dscnt 0x1
	v_add_f64_e32 v[6:7], v[8:9], v[6:7]
	s_wait_dscnt 0x0
	v_add_f64_e32 v[8:9], v[12:13], v[10:11]
	ds_store_b64 v4, v[6:7]
	ds_store_b64 v2, v[8:9]
.LBB5_7:
	s_or_b32 exec_lo, exec_lo, s3
	s_delay_alu instid0(SALU_CYCLE_1)
	s_mov_b32 s3, exec_lo
	s_wait_dscnt 0x0
	s_barrier_signal -1
	s_barrier_wait -1
	v_cmpx_gt_u32_e32 64, v0
	s_cbranch_execz .LBB5_9
; %bb.8:
	ds_load_2addr_stride64_b64 v[6:9], v4 offset1:1
	ds_load_2addr_stride64_b64 v[10:13], v2 offset1:1
	s_wait_dscnt 0x1
	v_add_f64_e32 v[6:7], v[8:9], v[6:7]
	s_wait_dscnt 0x0
	v_add_f64_e32 v[8:9], v[12:13], v[10:11]
	ds_store_b64 v4, v[6:7]
	ds_store_b64 v2, v[8:9]
.LBB5_9:
	s_or_b32 exec_lo, exec_lo, s3
	s_delay_alu instid0(SALU_CYCLE_1)
	s_mov_b32 s3, exec_lo
	s_wait_dscnt 0x0
	s_barrier_signal -1
	s_barrier_wait -1
	v_cmpx_gt_u32_e32 32, v0
	s_cbranch_execz .LBB5_11
; %bb.10:
	s_wait_kmcnt 0x0
	s_mov_b64 s[4:5], src_shared_base
	s_delay_alu instid0(SALU_CYCLE_1)
	v_dual_mov_b32 v5, s5 :: v_dual_add_nc_u32 v6, 0x100, v4
	v_mov_b32_e32 v7, s5
	flat_load_b64 v[8:9], v[6:7] scope:SCOPE_SYS
	s_wait_loadcnt 0x0
	flat_load_b64 v[10:11], v[4:5] scope:SCOPE_SYS
	s_wait_loadcnt_dscnt 0x0
	v_dual_add_f64 v[6:7], v[8:9], v[10:11] :: v_dual_mov_b32 v3, s5
	v_dual_mov_b32 v9, s5 :: v_dual_add_nc_u32 v8, 0x80, v4
	flat_store_b64 v[4:5], v[6:7] scope:SCOPE_SYS
	s_wait_storecnt 0x0
	flat_load_b64 v[6:7], v[8:9] scope:SCOPE_SYS
	s_wait_loadcnt 0x0
	flat_load_b64 v[10:11], v[4:5] scope:SCOPE_SYS
	s_wait_loadcnt_dscnt 0x0
	v_dual_add_f64 v[6:7], v[6:7], v[10:11] :: v_dual_add_nc_u32 v8, 64, v4
	flat_store_b64 v[4:5], v[6:7] scope:SCOPE_SYS
	s_wait_storecnt 0x0
	flat_load_b64 v[6:7], v[8:9] scope:SCOPE_SYS
	s_wait_loadcnt 0x0
	flat_load_b64 v[10:11], v[4:5] scope:SCOPE_SYS
	s_wait_loadcnt_dscnt 0x0
	v_dual_add_f64 v[6:7], v[6:7], v[10:11] :: v_dual_add_nc_u32 v8, 32, v4
	flat_store_b64 v[4:5], v[6:7] scope:SCOPE_SYS
	s_wait_storecnt 0x0
	flat_load_b64 v[6:7], v[8:9] scope:SCOPE_SYS
	s_wait_loadcnt 0x0
	flat_load_b64 v[10:11], v[4:5] scope:SCOPE_SYS
	s_wait_loadcnt_dscnt 0x0
	v_dual_add_f64 v[6:7], v[6:7], v[10:11] :: v_dual_add_nc_u32 v8, 16, v4
	flat_store_b64 v[4:5], v[6:7] scope:SCOPE_SYS
	s_wait_storecnt 0x0
	flat_load_b64 v[6:7], v[8:9] scope:SCOPE_SYS
	s_wait_loadcnt 0x0
	flat_load_b64 v[10:11], v[4:5] scope:SCOPE_SYS
	s_wait_loadcnt_dscnt 0x0
	v_dual_add_f64 v[6:7], v[6:7], v[10:11] :: v_dual_add_nc_u32 v8, 8, v4
	flat_store_b64 v[4:5], v[6:7] scope:SCOPE_SYS
	s_wait_storecnt 0x0
	flat_load_b64 v[6:7], v[8:9] scope:SCOPE_SYS
	s_wait_loadcnt 0x0
	flat_load_b64 v[10:11], v[4:5] scope:SCOPE_SYS
	s_wait_loadcnt_dscnt 0x0
	v_add_f64_e32 v[6:7], v[6:7], v[10:11]
	flat_store_b64 v[4:5], v[6:7] scope:SCOPE_SYS
	s_wait_storecnt 0x0
	s_wait_xcnt 0x0
	v_add_nc_u32_e32 v4, 0x100, v2
	flat_load_b64 v[6:7], v[4:5] scope:SCOPE_SYS
	s_wait_loadcnt 0x0
	flat_load_b64 v[8:9], v[2:3] scope:SCOPE_SYS
	s_wait_loadcnt 0x0
	s_wait_xcnt 0x1
	v_add_nc_u32_e32 v4, 0x80, v2
	s_wait_dscnt 0x0
	v_add_f64_e32 v[6:7], v[6:7], v[8:9]
	flat_store_b64 v[2:3], v[6:7] scope:SCOPE_SYS
	s_wait_storecnt 0x0
	flat_load_b64 v[6:7], v[4:5] scope:SCOPE_SYS
	s_wait_loadcnt 0x0
	flat_load_b64 v[8:9], v[2:3] scope:SCOPE_SYS
	s_wait_loadcnt_dscnt 0x0
	v_dual_add_f64 v[6:7], v[6:7], v[8:9] :: v_dual_add_nc_u32 v4, 64, v2
	flat_store_b64 v[2:3], v[6:7] scope:SCOPE_SYS
	s_wait_storecnt 0x0
	flat_load_b64 v[6:7], v[4:5] scope:SCOPE_SYS
	s_wait_loadcnt 0x0
	flat_load_b64 v[8:9], v[2:3] scope:SCOPE_SYS
	s_wait_loadcnt_dscnt 0x0
	v_dual_add_f64 v[6:7], v[6:7], v[8:9] :: v_dual_add_nc_u32 v4, 32, v2
	;; [unrolled: 7-line block ×4, first 2 shown]
	flat_store_b64 v[2:3], v[6:7] scope:SCOPE_SYS
	s_wait_storecnt 0x0
	flat_load_b64 v[6:7], v[4:5] scope:SCOPE_SYS
	s_wait_loadcnt 0x0
	flat_load_b64 v[8:9], v[2:3] scope:SCOPE_SYS
	s_wait_loadcnt_dscnt 0x0
	v_add_f64_e32 v[4:5], v[6:7], v[8:9]
	flat_store_b64 v[2:3], v[4:5] scope:SCOPE_SYS
	s_wait_storecnt 0x0
.LBB5_11:
	s_wait_xcnt 0x0
	s_or_b32 exec_lo, exec_lo, s3
	s_delay_alu instid0(SALU_CYCLE_1)
	s_mov_b32 s3, exec_lo
	v_cmpx_eq_u32_e32 0, v0
	s_cbranch_execz .LBB5_13
; %bb.12:
	s_wait_kmcnt 0x0
	s_load_b128 s[4:7], s[0:1], 0x18
	s_wait_xcnt 0x0
	s_bfe_u32 s0, ttmp6, 0x4000c
	s_and_b32 s1, ttmp6, 15
	s_add_co_i32 s0, s0, 1
	s_delay_alu instid0(SALU_CYCLE_1) | instskip(NEXT) | instid1(SALU_CYCLE_1)
	s_mul_i32 s0, ttmp9, s0
	s_add_co_i32 s1, s1, s0
	s_cmp_eq_u32 s2, 0
	s_cselect_b32 s0, ttmp9, s1
	s_delay_alu instid0(SALU_CYCLE_1)
	v_dual_mov_b32 v0, 0 :: v_dual_mov_b32 v4, s0
	ds_load_2addr_stride64_b64 v[0:3], v0 offset1:4
	s_wait_dscnt 0x0
	s_wait_kmcnt 0x0
	s_clause 0x1
	global_store_b64 v4, v[2:3], s[4:5] scale_offset
	global_store_b64 v4, v[0:1], s[6:7] scale_offset
.LBB5_13:
	s_endpgm
	.section	.rodata,"a",@progbits
	.p2align	6, 0x0
	.amdhsa_kernel _Z24gpu_find_inner_product_2iPKdS0_PdS1_
		.amdhsa_group_segment_fixed_size 4096
		.amdhsa_private_segment_fixed_size 0
		.amdhsa_kernarg_size 40
		.amdhsa_user_sgpr_count 2
		.amdhsa_user_sgpr_dispatch_ptr 0
		.amdhsa_user_sgpr_queue_ptr 0
		.amdhsa_user_sgpr_kernarg_segment_ptr 1
		.amdhsa_user_sgpr_dispatch_id 0
		.amdhsa_user_sgpr_kernarg_preload_length 0
		.amdhsa_user_sgpr_kernarg_preload_offset 0
		.amdhsa_user_sgpr_private_segment_size 0
		.amdhsa_wavefront_size32 1
		.amdhsa_uses_dynamic_stack 0
		.amdhsa_enable_private_segment 0
		.amdhsa_system_sgpr_workgroup_id_x 1
		.amdhsa_system_sgpr_workgroup_id_y 0
		.amdhsa_system_sgpr_workgroup_id_z 0
		.amdhsa_system_sgpr_workgroup_info 0
		.amdhsa_system_vgpr_workitem_id 0
		.amdhsa_next_free_vgpr 14
		.amdhsa_next_free_sgpr 12
		.amdhsa_named_barrier_count 0
		.amdhsa_reserve_vcc 0
		.amdhsa_float_round_mode_32 0
		.amdhsa_float_round_mode_16_64 0
		.amdhsa_float_denorm_mode_32 3
		.amdhsa_float_denorm_mode_16_64 3
		.amdhsa_fp16_overflow 0
		.amdhsa_memory_ordered 1
		.amdhsa_forward_progress 1
		.amdhsa_inst_pref_size 11
		.amdhsa_round_robin_scheduling 0
		.amdhsa_exception_fp_ieee_invalid_op 0
		.amdhsa_exception_fp_denorm_src 0
		.amdhsa_exception_fp_ieee_div_zero 0
		.amdhsa_exception_fp_ieee_overflow 0
		.amdhsa_exception_fp_ieee_underflow 0
		.amdhsa_exception_fp_ieee_inexact 0
		.amdhsa_exception_int_div_zero 0
	.end_amdhsa_kernel
	.text
.Lfunc_end5:
	.size	_Z24gpu_find_inner_product_2iPKdS0_PdS1_, .Lfunc_end5-_Z24gpu_find_inner_product_2iPKdS0_PdS1_
                                        ; -- End function
	.set _Z24gpu_find_inner_product_2iPKdS0_PdS1_.num_vgpr, 14
	.set _Z24gpu_find_inner_product_2iPKdS0_PdS1_.num_agpr, 0
	.set _Z24gpu_find_inner_product_2iPKdS0_PdS1_.numbered_sgpr, 12
	.set _Z24gpu_find_inner_product_2iPKdS0_PdS1_.num_named_barrier, 0
	.set _Z24gpu_find_inner_product_2iPKdS0_PdS1_.private_seg_size, 0
	.set _Z24gpu_find_inner_product_2iPKdS0_PdS1_.uses_vcc, 0
	.set _Z24gpu_find_inner_product_2iPKdS0_PdS1_.uses_flat_scratch, 0
	.set _Z24gpu_find_inner_product_2iPKdS0_PdS1_.has_dyn_sized_stack, 0
	.set _Z24gpu_find_inner_product_2iPKdS0_PdS1_.has_recursion, 0
	.set _Z24gpu_find_inner_product_2iPKdS0_PdS1_.has_indirect_call, 0
	.section	.AMDGPU.csdata,"",@progbits
; Kernel info:
; codeLenInByte = 1360
; TotalNumSgprs: 12
; NumVgprs: 14
; ScratchSize: 0
; MemoryBound: 1
; FloatMode: 240
; IeeeMode: 1
; LDSByteSize: 4096 bytes/workgroup (compile time only)
; SGPRBlocks: 0
; VGPRBlocks: 0
; NumSGPRsForWavesPerEU: 12
; NumVGPRsForWavesPerEU: 14
; NamedBarCnt: 0
; Occupancy: 16
; WaveLimiterHint : 1
; COMPUTE_PGM_RSRC2:SCRATCH_EN: 0
; COMPUTE_PGM_RSRC2:USER_SGPR: 2
; COMPUTE_PGM_RSRC2:TRAP_HANDLER: 0
; COMPUTE_PGM_RSRC2:TGID_X_EN: 1
; COMPUTE_PGM_RSRC2:TGID_Y_EN: 0
; COMPUTE_PGM_RSRC2:TGID_Z_EN: 0
; COMPUTE_PGM_RSRC2:TIDIG_COMP_CNT: 0
	.text
	.p2alignl 7, 3214868480
	.fill 96, 4, 3214868480
	.section	.AMDGPU.gpr_maximums,"",@progbits
	.set amdgpu.max_num_vgpr, 0
	.set amdgpu.max_num_agpr, 0
	.set amdgpu.max_num_sgpr, 0
	.text
	.type	__hip_cuid_26b869a4232955b,@object ; @__hip_cuid_26b869a4232955b
	.section	.bss,"aw",@nobits
	.globl	__hip_cuid_26b869a4232955b
__hip_cuid_26b869a4232955b:
	.byte	0                               ; 0x0
	.size	__hip_cuid_26b869a4232955b, 1

	.ident	"AMD clang version 22.0.0git (https://github.com/RadeonOpenCompute/llvm-project roc-7.2.4 26084 f58b06dce1f9c15707c5f808fd002e18c2accf7e)"
	.section	".note.GNU-stack","",@progbits
	.addrsig
	.addrsig_sym __hip_cuid_26b869a4232955b
	.amdgpu_metadata
---
amdhsa.kernels:
  - .args:
      - .offset:         0
        .size:           4
        .value_kind:     by_value
      - .actual_access:  write_only
        .address_space:  global
        .offset:         8
        .size:           8
        .value_kind:     global_buffer
      - .actual_access:  write_only
        .address_space:  global
        .offset:         16
        .size:           8
        .value_kind:     global_buffer
      - .offset:         24
        .size:           4
        .value_kind:     hidden_block_count_x
      - .offset:         28
        .size:           4
        .value_kind:     hidden_block_count_y
      - .offset:         32
        .size:           4
        .value_kind:     hidden_block_count_z
      - .offset:         36
        .size:           2
        .value_kind:     hidden_group_size_x
      - .offset:         38
        .size:           2
        .value_kind:     hidden_group_size_y
      - .offset:         40
        .size:           2
        .value_kind:     hidden_group_size_z
      - .offset:         42
        .size:           2
        .value_kind:     hidden_remainder_x
      - .offset:         44
        .size:           2
        .value_kind:     hidden_remainder_y
      - .offset:         46
        .size:           2
        .value_kind:     hidden_remainder_z
      - .offset:         64
        .size:           8
        .value_kind:     hidden_global_offset_x
      - .offset:         72
        .size:           8
        .value_kind:     hidden_global_offset_y
      - .offset:         80
        .size:           8
        .value_kind:     hidden_global_offset_z
      - .offset:         88
        .size:           2
        .value_kind:     hidden_grid_dims
    .group_segment_fixed_size: 0
    .kernarg_segment_align: 8
    .kernarg_segment_size: 280
    .language:       OpenCL C
    .language_version:
      - 2
      - 0
    .max_flat_workgroup_size: 1024
    .name:           _Z12gpu_set_zeroiPdS_
    .private_segment_fixed_size: 0
    .sgpr_count:     8
    .sgpr_spill_count: 0
    .symbol:         _Z12gpu_set_zeroiPdS_.kd
    .uniform_work_group_size: 1
    .uses_dynamic_stack: false
    .vgpr_count:     4
    .vgpr_spill_count: 0
    .wavefront_size: 32
  - .args:
      - .offset:         0
        .size:           4
        .value_kind:     by_value
      - .actual_access:  read_only
        .address_space:  global
        .offset:         8
        .size:           8
        .value_kind:     global_buffer
      - .actual_access:  read_only
        .address_space:  global
        .offset:         16
        .size:           8
        .value_kind:     global_buffer
      - .actual_access:  write_only
        .address_space:  global
        .offset:         24
        .size:           8
        .value_kind:     global_buffer
      - .actual_access:  write_only
        .address_space:  global
        .offset:         32
        .size:           8
        .value_kind:     global_buffer
      - .offset:         40
        .size:           4
        .value_kind:     hidden_block_count_x
      - .offset:         44
        .size:           4
        .value_kind:     hidden_block_count_y
      - .offset:         48
        .size:           4
        .value_kind:     hidden_block_count_z
      - .offset:         52
        .size:           2
        .value_kind:     hidden_group_size_x
      - .offset:         54
        .size:           2
        .value_kind:     hidden_group_size_y
      - .offset:         56
        .size:           2
        .value_kind:     hidden_group_size_z
      - .offset:         58
        .size:           2
        .value_kind:     hidden_remainder_x
      - .offset:         60
        .size:           2
        .value_kind:     hidden_remainder_y
      - .offset:         62
        .size:           2
        .value_kind:     hidden_remainder_z
      - .offset:         80
        .size:           8
        .value_kind:     hidden_global_offset_x
      - .offset:         88
        .size:           8
        .value_kind:     hidden_global_offset_y
      - .offset:         96
        .size:           8
        .value_kind:     hidden_global_offset_z
      - .offset:         104
        .size:           2
        .value_kind:     hidden_grid_dims
    .group_segment_fixed_size: 0
    .kernarg_segment_align: 8
    .kernarg_segment_size: 296
    .language:       OpenCL C
    .language_version:
      - 2
      - 0
    .max_flat_workgroup_size: 1024
    .name:           _Z14gpu_copy_stateiPKdS0_PdS1_
    .private_segment_fixed_size: 0
    .sgpr_count:     12
    .sgpr_spill_count: 0
    .symbol:         _Z14gpu_copy_stateiPKdS0_PdS1_.kd
    .uniform_work_group_size: 1
    .uses_dynamic_stack: false
    .vgpr_count:     6
    .vgpr_spill_count: 0
    .wavefront_size: 32
  - .args:
      - .offset:         0
        .size:           4
        .value_kind:     by_value
      - .actual_access:  read_only
        .address_space:  global
        .offset:         8
        .size:           8
        .value_kind:     global_buffer
      - .actual_access:  read_only
        .address_space:  global
        .offset:         16
        .size:           8
        .value_kind:     global_buffer
      - .address_space:  global
        .offset:         24
        .size:           8
        .value_kind:     global_buffer
      - .address_space:  global
        .offset:         32
        .size:           8
        .value_kind:     global_buffer
      - .offset:         40
        .size:           4
        .value_kind:     hidden_block_count_x
      - .offset:         44
        .size:           4
        .value_kind:     hidden_block_count_y
      - .offset:         48
        .size:           4
        .value_kind:     hidden_block_count_z
      - .offset:         52
        .size:           2
        .value_kind:     hidden_group_size_x
      - .offset:         54
        .size:           2
        .value_kind:     hidden_group_size_y
      - .offset:         56
        .size:           2
        .value_kind:     hidden_group_size_z
      - .offset:         58
        .size:           2
        .value_kind:     hidden_remainder_x
      - .offset:         60
        .size:           2
        .value_kind:     hidden_remainder_y
      - .offset:         62
        .size:           2
        .value_kind:     hidden_remainder_z
      - .offset:         80
        .size:           8
        .value_kind:     hidden_global_offset_x
      - .offset:         88
        .size:           8
        .value_kind:     hidden_global_offset_y
      - .offset:         96
        .size:           8
        .value_kind:     hidden_global_offset_z
      - .offset:         104
        .size:           2
        .value_kind:     hidden_grid_dims
    .group_segment_fixed_size: 0
    .kernarg_segment_align: 8
    .kernarg_segment_size: 296
    .language:       OpenCL C
    .language_version:
      - 2
      - 0
    .max_flat_workgroup_size: 1024
    .name:           _Z13gpu_add_stateiPKdS0_PdS1_
    .private_segment_fixed_size: 0
    .sgpr_count:     12
    .sgpr_spill_count: 0
    .symbol:         _Z13gpu_add_stateiPKdS0_PdS1_.kd
    .uniform_work_group_size: 1
    .uses_dynamic_stack: false
    .vgpr_count:     10
    .vgpr_spill_count: 0
    .wavefront_size: 32
  - .args:
      - .offset:         0
        .size:           4
        .value_kind:     by_value
      - .actual_access:  read_only
        .address_space:  global
        .offset:         8
        .size:           8
        .value_kind:     global_buffer
      - .actual_access:  read_only
        .address_space:  global
        .offset:         16
        .size:           8
        .value_kind:     global_buffer
      - .actual_access:  write_only
        .address_space:  global
        .offset:         24
        .size:           8
        .value_kind:     global_buffer
      - .actual_access:  write_only
        .address_space:  global
        .offset:         32
        .size:           8
        .value_kind:     global_buffer
      - .offset:         40
        .size:           4
        .value_kind:     hidden_block_count_x
      - .offset:         44
        .size:           4
        .value_kind:     hidden_block_count_y
      - .offset:         48
        .size:           4
        .value_kind:     hidden_block_count_z
      - .offset:         52
        .size:           2
        .value_kind:     hidden_group_size_x
      - .offset:         54
        .size:           2
        .value_kind:     hidden_group_size_y
      - .offset:         56
        .size:           2
        .value_kind:     hidden_group_size_z
      - .offset:         58
        .size:           2
        .value_kind:     hidden_remainder_x
      - .offset:         60
        .size:           2
        .value_kind:     hidden_remainder_y
      - .offset:         62
        .size:           2
        .value_kind:     hidden_remainder_z
      - .offset:         80
        .size:           8
        .value_kind:     hidden_global_offset_x
      - .offset:         88
        .size:           8
        .value_kind:     hidden_global_offset_y
      - .offset:         96
        .size:           8
        .value_kind:     hidden_global_offset_z
      - .offset:         104
        .size:           2
        .value_kind:     hidden_grid_dims
    .group_segment_fixed_size: 0
    .kernarg_segment_align: 8
    .kernarg_segment_size: 296
    .language:       OpenCL C
    .language_version:
      - 2
      - 0
    .max_flat_workgroup_size: 1024
    .name:           _Z12gpu_apply_sziPKdS0_PdS1_
    .private_segment_fixed_size: 0
    .sgpr_count:     10
    .sgpr_spill_count: 0
    .symbol:         _Z12gpu_apply_sziPKdS0_PdS1_.kd
    .uniform_work_group_size: 1
    .uses_dynamic_stack: false
    .vgpr_count:     8
    .vgpr_spill_count: 0
    .wavefront_size: 32
  - .args:
      - .offset:         0
        .size:           4
        .value_kind:     by_value
      - .actual_access:  read_only
        .address_space:  global
        .offset:         8
        .size:           8
        .value_kind:     global_buffer
      - .actual_access:  read_only
        .address_space:  global
        .offset:         16
        .size:           8
        .value_kind:     global_buffer
      - .actual_access:  read_only
        .address_space:  global
        .offset:         24
        .size:           8
        .value_kind:     global_buffer
      - .actual_access:  read_only
        .address_space:  global
        .offset:         32
        .size:           8
        .value_kind:     global_buffer
      - .actual_access:  write_only
        .address_space:  global
        .offset:         40
        .size:           8
        .value_kind:     global_buffer
      - .actual_access:  write_only
        .address_space:  global
        .offset:         48
        .size:           8
        .value_kind:     global_buffer
      - .offset:         56
        .size:           4
        .value_kind:     by_value
      - .offset:         64
        .size:           4
        .value_kind:     hidden_block_count_x
      - .offset:         68
        .size:           4
        .value_kind:     hidden_block_count_y
      - .offset:         72
        .size:           4
        .value_kind:     hidden_block_count_z
      - .offset:         76
        .size:           2
        .value_kind:     hidden_group_size_x
      - .offset:         78
        .size:           2
        .value_kind:     hidden_group_size_y
      - .offset:         80
        .size:           2
        .value_kind:     hidden_group_size_z
      - .offset:         82
        .size:           2
        .value_kind:     hidden_remainder_x
      - .offset:         84
        .size:           2
        .value_kind:     hidden_remainder_y
      - .offset:         86
        .size:           2
        .value_kind:     hidden_remainder_z
      - .offset:         104
        .size:           8
        .value_kind:     hidden_global_offset_x
      - .offset:         112
        .size:           8
        .value_kind:     hidden_global_offset_y
      - .offset:         120
        .size:           8
        .value_kind:     hidden_global_offset_z
      - .offset:         128
        .size:           2
        .value_kind:     hidden_grid_dims
    .group_segment_fixed_size: 4096
    .kernarg_segment_align: 8
    .kernarg_segment_size: 320
    .language:       OpenCL C
    .language_version:
      - 2
      - 0
    .max_flat_workgroup_size: 1024
    .name:           _Z24gpu_find_inner_product_1iPKdS0_S0_S0_PdS1_i
    .private_segment_fixed_size: 0
    .sgpr_count:     12
    .sgpr_spill_count: 0
    .symbol:         _Z24gpu_find_inner_product_1iPKdS0_S0_S0_PdS1_i.kd
    .uniform_work_group_size: 1
    .uses_dynamic_stack: false
    .vgpr_count:     16
    .vgpr_spill_count: 0
    .wavefront_size: 32
  - .args:
      - .offset:         0
        .size:           4
        .value_kind:     by_value
      - .actual_access:  read_only
        .address_space:  global
        .offset:         8
        .size:           8
        .value_kind:     global_buffer
      - .actual_access:  read_only
        .address_space:  global
        .offset:         16
        .size:           8
        .value_kind:     global_buffer
      - .actual_access:  write_only
        .address_space:  global
        .offset:         24
        .size:           8
        .value_kind:     global_buffer
      - .actual_access:  write_only
        .address_space:  global
        .offset:         32
        .size:           8
        .value_kind:     global_buffer
    .group_segment_fixed_size: 4096
    .kernarg_segment_align: 8
    .kernarg_segment_size: 40
    .language:       OpenCL C
    .language_version:
      - 2
      - 0
    .max_flat_workgroup_size: 1024
    .name:           _Z24gpu_find_inner_product_2iPKdS0_PdS1_
    .private_segment_fixed_size: 0
    .sgpr_count:     12
    .sgpr_spill_count: 0
    .symbol:         _Z24gpu_find_inner_product_2iPKdS0_PdS1_.kd
    .uniform_work_group_size: 1
    .uses_dynamic_stack: false
    .vgpr_count:     14
    .vgpr_spill_count: 0
    .wavefront_size: 32
amdhsa.target:   amdgcn-amd-amdhsa--gfx1250
amdhsa.version:
  - 1
  - 2
...

	.end_amdgpu_metadata
